;; amdgpu-corpus repo=ROCm/rocFFT kind=compiled arch=gfx950 opt=O3
	.text
	.amdgcn_target "amdgcn-amd-amdhsa--gfx950"
	.amdhsa_code_object_version 6
	.protected	fft_rtc_back_len144_factors_6_6_4_wgs_120_tpt_12_halfLds_dp_op_CI_CI_sbrr_dirReg ; -- Begin function fft_rtc_back_len144_factors_6_6_4_wgs_120_tpt_12_halfLds_dp_op_CI_CI_sbrr_dirReg
	.globl	fft_rtc_back_len144_factors_6_6_4_wgs_120_tpt_12_halfLds_dp_op_CI_CI_sbrr_dirReg
	.p2align	8
	.type	fft_rtc_back_len144_factors_6_6_4_wgs_120_tpt_12_halfLds_dp_op_CI_CI_sbrr_dirReg,@function
fft_rtc_back_len144_factors_6_6_4_wgs_120_tpt_12_halfLds_dp_op_CI_CI_sbrr_dirReg: ; @fft_rtc_back_len144_factors_6_6_4_wgs_120_tpt_12_halfLds_dp_op_CI_CI_sbrr_dirReg
; %bb.0:
	s_load_dwordx4 s[12:15], s[0:1], 0x18
	s_load_dwordx4 s[8:11], s[0:1], 0x0
	;; [unrolled: 1-line block ×3, first 2 shown]
	v_mul_u32_u24_e32 v1, 0x1556, v0
	v_lshrrev_b32_e32 v2, 16, v1
	s_waitcnt lgkmcnt(0)
	s_load_dwordx2 s[18:19], s[12:13], 0x0
	s_load_dwordx2 s[16:17], s[14:15], 0x0
	v_mad_u64_u32 v[52:53], s[2:3], s2, 10, v[2:3]
	v_mov_b32_e32 v2, 0
	v_mov_b32_e32 v53, v2
	v_cmp_lt_u64_e64 s[2:3], s[10:11], 2
	v_mov_b64_e32 v[4:5], 0
	s_and_b64 vcc, exec, s[2:3]
	v_mov_b64_e32 v[48:49], v[4:5]
	v_mov_b64_e32 v[50:51], v[52:53]
	s_cbranch_vccnz .LBB0_8
; %bb.1:
	s_load_dwordx2 s[2:3], s[0:1], 0x10
	s_add_u32 s20, s14, 8
	s_addc_u32 s21, s15, 0
	s_add_u32 s22, s12, 8
	s_addc_u32 s23, s13, 0
	s_waitcnt lgkmcnt(0)
	s_add_u32 s24, s2, 8
	v_mov_b64_e32 v[4:5], 0
	s_addc_u32 s25, s3, 0
	s_mov_b64 s[26:27], 1
	v_mov_b64_e32 v[48:49], v[4:5]
	v_mov_b64_e32 v[6:7], v[52:53]
.LBB0_2:                                ; =>This Inner Loop Header: Depth=1
	s_load_dwordx2 s[28:29], s[24:25], 0x0
                                        ; implicit-def: $vgpr50_vgpr51
	s_waitcnt lgkmcnt(0)
	v_or_b32_e32 v3, s29, v7
	v_cmp_ne_u64_e32 vcc, 0, v[2:3]
	s_and_saveexec_b64 s[2:3], vcc
	s_xor_b64 s[30:31], exec, s[2:3]
	s_cbranch_execz .LBB0_4
; %bb.3:                                ;   in Loop: Header=BB0_2 Depth=1
	v_cvt_f32_u32_e32 v1, s28
	v_cvt_f32_u32_e32 v3, s29
	s_sub_u32 s2, 0, s28
	s_subb_u32 s3, 0, s29
	v_fmac_f32_e32 v1, 0x4f800000, v3
	v_rcp_f32_e32 v1, v1
	s_nop 0
	v_mul_f32_e32 v1, 0x5f7ffffc, v1
	v_mul_f32_e32 v3, 0x2f800000, v1
	v_trunc_f32_e32 v3, v3
	v_fmac_f32_e32 v1, 0xcf800000, v3
	v_cvt_u32_f32_e32 v3, v3
	v_cvt_u32_f32_e32 v1, v1
	v_mul_lo_u32 v8, s2, v3
	v_mul_hi_u32 v10, s2, v1
	v_mul_lo_u32 v9, s3, v1
	v_add_u32_e32 v10, v10, v8
	v_mul_lo_u32 v12, s2, v1
	v_add_u32_e32 v13, v10, v9
	v_mul_hi_u32 v8, v1, v12
	v_mul_hi_u32 v11, v1, v13
	v_mul_lo_u32 v10, v1, v13
	v_mov_b32_e32 v9, v2
	v_lshl_add_u64 v[8:9], v[8:9], 0, v[10:11]
	v_mul_hi_u32 v11, v3, v12
	v_mul_lo_u32 v12, v3, v12
	v_add_co_u32_e32 v8, vcc, v8, v12
	v_mul_hi_u32 v10, v3, v13
	s_nop 0
	v_addc_co_u32_e32 v8, vcc, v9, v11, vcc
	v_mov_b32_e32 v9, v2
	s_nop 0
	v_addc_co_u32_e32 v11, vcc, 0, v10, vcc
	v_mul_lo_u32 v10, v3, v13
	v_lshl_add_u64 v[8:9], v[8:9], 0, v[10:11]
	v_add_co_u32_e32 v1, vcc, v1, v8
	v_mul_lo_u32 v10, s2, v1
	s_nop 0
	v_addc_co_u32_e32 v3, vcc, v3, v9, vcc
	v_mul_lo_u32 v8, s2, v3
	v_mul_hi_u32 v9, s2, v1
	v_add_u32_e32 v8, v9, v8
	v_mul_lo_u32 v9, s3, v1
	v_add_u32_e32 v12, v8, v9
	v_mul_hi_u32 v14, v3, v10
	v_mul_lo_u32 v15, v3, v10
	v_mul_hi_u32 v9, v1, v12
	v_mul_lo_u32 v8, v1, v12
	v_mul_hi_u32 v10, v1, v10
	v_mov_b32_e32 v11, v2
	v_lshl_add_u64 v[8:9], v[10:11], 0, v[8:9]
	v_add_co_u32_e32 v8, vcc, v8, v15
	v_mul_hi_u32 v13, v3, v12
	s_nop 0
	v_addc_co_u32_e32 v8, vcc, v9, v14, vcc
	v_mul_lo_u32 v10, v3, v12
	s_nop 0
	v_addc_co_u32_e32 v11, vcc, 0, v13, vcc
	v_mov_b32_e32 v9, v2
	v_lshl_add_u64 v[8:9], v[8:9], 0, v[10:11]
	v_add_co_u32_e32 v1, vcc, v1, v8
	v_mul_hi_u32 v10, v6, v1
	s_nop 0
	v_addc_co_u32_e32 v3, vcc, v3, v9, vcc
	v_mad_u64_u32 v[8:9], s[2:3], v6, v3, 0
	v_mov_b32_e32 v11, v2
	v_lshl_add_u64 v[8:9], v[10:11], 0, v[8:9]
	v_mad_u64_u32 v[12:13], s[2:3], v7, v1, 0
	v_add_co_u32_e32 v1, vcc, v8, v12
	v_mad_u64_u32 v[10:11], s[2:3], v7, v3, 0
	s_nop 0
	v_addc_co_u32_e32 v8, vcc, v9, v13, vcc
	v_mov_b32_e32 v9, v2
	s_nop 0
	v_addc_co_u32_e32 v11, vcc, 0, v11, vcc
	v_lshl_add_u64 v[8:9], v[8:9], 0, v[10:11]
	v_mul_lo_u32 v1, s29, v8
	v_mul_lo_u32 v3, s28, v9
	v_mad_u64_u32 v[10:11], s[2:3], s28, v8, 0
	v_add3_u32 v1, v11, v3, v1
	v_sub_u32_e32 v3, v7, v1
	v_mov_b32_e32 v11, s29
	v_sub_co_u32_e32 v14, vcc, v6, v10
	v_lshl_add_u64 v[12:13], v[8:9], 0, 1
	s_nop 0
	v_subb_co_u32_e64 v3, s[2:3], v3, v11, vcc
	v_subrev_co_u32_e64 v10, s[2:3], s28, v14
	v_subb_co_u32_e32 v1, vcc, v7, v1, vcc
	s_nop 0
	v_subbrev_co_u32_e64 v3, s[2:3], 0, v3, s[2:3]
	v_cmp_le_u32_e64 s[2:3], s29, v3
	v_cmp_le_u32_e32 vcc, s29, v1
	s_nop 0
	v_cndmask_b32_e64 v11, 0, -1, s[2:3]
	v_cmp_le_u32_e64 s[2:3], s28, v10
	s_nop 1
	v_cndmask_b32_e64 v10, 0, -1, s[2:3]
	v_cmp_eq_u32_e64 s[2:3], s29, v3
	s_nop 1
	v_cndmask_b32_e64 v3, v11, v10, s[2:3]
	v_lshl_add_u64 v[10:11], v[8:9], 0, 2
	v_cmp_ne_u32_e64 s[2:3], 0, v3
	s_nop 1
	v_cndmask_b32_e64 v3, v13, v11, s[2:3]
	v_cndmask_b32_e64 v11, 0, -1, vcc
	v_cmp_le_u32_e32 vcc, s28, v14
	s_nop 1
	v_cndmask_b32_e64 v13, 0, -1, vcc
	v_cmp_eq_u32_e32 vcc, s29, v1
	s_nop 1
	v_cndmask_b32_e32 v1, v11, v13, vcc
	v_cmp_ne_u32_e32 vcc, 0, v1
	v_cndmask_b32_e64 v1, v12, v10, s[2:3]
	s_nop 0
	v_cndmask_b32_e32 v51, v9, v3, vcc
	v_cndmask_b32_e32 v50, v8, v1, vcc
.LBB0_4:                                ;   in Loop: Header=BB0_2 Depth=1
	s_andn2_saveexec_b64 s[2:3], s[30:31]
	s_cbranch_execz .LBB0_6
; %bb.5:                                ;   in Loop: Header=BB0_2 Depth=1
	v_cvt_f32_u32_e32 v1, s28
	s_sub_i32 s30, 0, s28
	v_mov_b32_e32 v51, v2
	v_rcp_iflag_f32_e32 v1, v1
	s_nop 0
	v_mul_f32_e32 v1, 0x4f7ffffe, v1
	v_cvt_u32_f32_e32 v1, v1
	v_mul_lo_u32 v3, s30, v1
	v_mul_hi_u32 v3, v1, v3
	v_add_u32_e32 v1, v1, v3
	v_mul_hi_u32 v1, v6, v1
	v_mul_lo_u32 v3, v1, s28
	v_sub_u32_e32 v3, v6, v3
	v_add_u32_e32 v8, 1, v1
	v_subrev_u32_e32 v9, s28, v3
	v_cmp_le_u32_e32 vcc, s28, v3
	s_nop 1
	v_cndmask_b32_e32 v3, v3, v9, vcc
	v_cndmask_b32_e32 v1, v1, v8, vcc
	v_add_u32_e32 v8, 1, v1
	v_cmp_le_u32_e32 vcc, s28, v3
	s_nop 1
	v_cndmask_b32_e32 v50, v1, v8, vcc
.LBB0_6:                                ;   in Loop: Header=BB0_2 Depth=1
	s_or_b64 exec, exec, s[2:3]
	v_mad_u64_u32 v[8:9], s[2:3], v50, s28, 0
	s_load_dwordx2 s[2:3], s[22:23], 0x0
	v_mul_lo_u32 v1, v51, s28
	v_mul_lo_u32 v3, v50, s29
	s_load_dwordx2 s[28:29], s[20:21], 0x0
	s_add_u32 s26, s26, 1
	v_add3_u32 v1, v9, v3, v1
	v_sub_co_u32_e32 v3, vcc, v6, v8
	s_addc_u32 s27, s27, 0
	s_nop 0
	v_subb_co_u32_e32 v1, vcc, v7, v1, vcc
	s_add_u32 s20, s20, 8
	s_waitcnt lgkmcnt(0)
	v_mul_lo_u32 v6, s2, v1
	v_mul_lo_u32 v7, s3, v3
	v_mad_u64_u32 v[4:5], s[2:3], s2, v3, v[4:5]
	s_addc_u32 s21, s21, 0
	v_add3_u32 v5, v7, v5, v6
	v_mul_lo_u32 v1, s28, v1
	v_mul_lo_u32 v6, s29, v3
	v_mad_u64_u32 v[48:49], s[2:3], s28, v3, v[48:49]
	s_add_u32 s22, s22, 8
	v_add3_u32 v49, v6, v49, v1
	s_addc_u32 s23, s23, 0
	v_mov_b64_e32 v[6:7], s[10:11]
	s_add_u32 s24, s24, 8
	v_cmp_ge_u64_e32 vcc, s[26:27], v[6:7]
	s_addc_u32 s25, s25, 0
	s_cbranch_vccnz .LBB0_8
; %bb.7:                                ;   in Loop: Header=BB0_2 Depth=1
	v_mov_b64_e32 v[6:7], v[50:51]
	s_branch .LBB0_2
.LBB0_8:
	s_load_dwordx2 s[0:1], s[0:1], 0x28
	s_lshl_b64 s[10:11], s[10:11], 3
	s_add_u32 s2, s14, s10
	s_addc_u32 s3, s15, s11
                                        ; implicit-def: $vgpr53
                                        ; implicit-def: $vgpr54
                                        ; implicit-def: $vgpr55
	s_waitcnt lgkmcnt(0)
	v_cmp_gt_u64_e32 vcc, s[0:1], v[50:51]
	v_cmp_le_u64_e64 s[0:1], s[0:1], v[50:51]
	s_and_saveexec_b64 s[14:15], s[0:1]
	s_xor_b64 s[0:1], exec, s[14:15]
; %bb.9:
	s_mov_b32 s14, 0x15555556
	v_mul_hi_u32 v1, v0, s14
	v_mul_u32_u24_e32 v1, 12, v1
	v_sub_u32_e32 v53, v0, v1
	v_add_u32_e32 v54, 12, v53
	v_add_u32_e32 v55, 24, v53
                                        ; implicit-def: $vgpr0
                                        ; implicit-def: $vgpr4_vgpr5
; %bb.10:
	s_or_saveexec_b64 s[0:1], s[0:1]
                                        ; implicit-def: $vgpr6_vgpr7
                                        ; implicit-def: $vgpr22_vgpr23
                                        ; implicit-def: $vgpr30_vgpr31
                                        ; implicit-def: $vgpr10_vgpr11
                                        ; implicit-def: $vgpr26_vgpr27
                                        ; implicit-def: $vgpr46_vgpr47
                                        ; implicit-def: $vgpr42_vgpr43
                                        ; implicit-def: $vgpr34_vgpr35
                                        ; implicit-def: $vgpr14_vgpr15
                                        ; implicit-def: $vgpr38_vgpr39
                                        ; implicit-def: $vgpr18_vgpr19
                                        ; implicit-def: $vgpr2_vgpr3
	s_xor_b64 exec, exec, s[0:1]
	s_cbranch_execz .LBB0_12
; %bb.11:
	s_add_u32 s10, s12, s10
	s_addc_u32 s11, s13, s11
	s_load_dwordx2 s[10:11], s[10:11], 0x0
	s_mov_b32 s12, 0x15555556
	s_waitcnt lgkmcnt(0)
	v_mul_lo_u32 v1, s11, v50
	v_mul_lo_u32 v6, s10, v51
	v_mad_u64_u32 v[2:3], s[10:11], s10, v50, 0
	v_add3_u32 v3, v3, v6, v1
	v_mul_hi_u32 v1, v0, s12
	v_mul_u32_u24_e32 v1, 12, v1
	v_sub_u32_e32 v53, v0, v1
	v_mad_u64_u32 v[0:1], s[10:11], s18, v53, 0
	v_mov_b32_e32 v6, v1
	v_mad_u64_u32 v[6:7], s[10:11], s19, v53, v[6:7]
	v_lshl_add_u64 v[2:3], v[2:3], 4, s[4:5]
	v_mov_b32_e32 v1, v6
	v_lshl_add_u64 v[40:41], v[4:5], 4, v[2:3]
	v_add_u32_e32 v55, 24, v53
	v_lshl_add_u64 v[8:9], v[0:1], 4, v[40:41]
	v_mad_u64_u32 v[0:1], s[4:5], s18, v55, 0
	v_mov_b32_e32 v2, v1
	v_mad_u64_u32 v[2:3], s[4:5], s19, v55, v[2:3]
	v_mov_b32_e32 v1, v2
	v_lshl_add_u64 v[10:11], v[0:1], 4, v[40:41]
	global_load_dwordx4 v[0:3], v[8:9], off
	global_load_dwordx4 v[4:7], v[10:11], off
	v_or_b32_e32 v11, 48, v53
	v_mad_u64_u32 v[8:9], s[4:5], s18, v11, 0
	v_mov_b32_e32 v10, v9
	v_mad_u64_u32 v[10:11], s[4:5], s19, v11, v[10:11]
	v_add_u32_e32 v13, 0x48, v53
	v_mov_b32_e32 v9, v10
	v_mad_u64_u32 v[10:11], s[4:5], s18, v13, 0
	v_mov_b32_e32 v12, v11
	v_mad_u64_u32 v[12:13], s[4:5], s19, v13, v[12:13]
	v_mov_b32_e32 v11, v12
	v_lshl_add_u64 v[8:9], v[8:9], 4, v[40:41]
	v_lshl_add_u64 v[10:11], v[10:11], 4, v[40:41]
	global_load_dwordx4 v[20:23], v[8:9], off
	global_load_dwordx4 v[16:19], v[10:11], off
	v_or_b32_e32 v11, 0x60, v53
	v_mad_u64_u32 v[8:9], s[4:5], s18, v11, 0
	v_mov_b32_e32 v10, v9
	v_mad_u64_u32 v[10:11], s[4:5], s19, v11, v[10:11]
	v_add_u32_e32 v13, 0x78, v53
	v_mov_b32_e32 v9, v10
	v_mad_u64_u32 v[10:11], s[4:5], s18, v13, 0
	v_mov_b32_e32 v12, v11
	v_mad_u64_u32 v[12:13], s[4:5], s19, v13, v[12:13]
	v_lshl_add_u64 v[8:9], v[8:9], 4, v[40:41]
	v_mov_b32_e32 v11, v12
	v_add_u32_e32 v54, 12, v53
	v_lshl_add_u64 v[10:11], v[10:11], 4, v[40:41]
	global_load_dwordx4 v[36:39], v[8:9], off
	global_load_dwordx4 v[28:31], v[10:11], off
	v_mad_u64_u32 v[8:9], s[4:5], s18, v54, 0
	v_mov_b32_e32 v10, v9
	v_mad_u64_u32 v[10:11], s[4:5], s19, v54, v[10:11]
	v_mov_b32_e32 v9, v10
	v_add_u32_e32 v11, 36, v53
	v_lshl_add_u64 v[24:25], v[8:9], 4, v[40:41]
	v_mad_u64_u32 v[8:9], s[4:5], s18, v11, 0
	v_mov_b32_e32 v10, v9
	v_mad_u64_u32 v[10:11], s[4:5], s19, v11, v[10:11]
	v_mov_b32_e32 v9, v10
	v_lshl_add_u64 v[26:27], v[8:9], 4, v[40:41]
	global_load_dwordx4 v[8:11], v[24:25], off
	global_load_dwordx4 v[12:15], v[26:27], off
	v_add_u32_e32 v27, 60, v53
	v_mad_u64_u32 v[24:25], s[4:5], s18, v27, 0
	v_mov_b32_e32 v26, v25
	v_mad_u64_u32 v[26:27], s[4:5], s19, v27, v[26:27]
	v_mov_b32_e32 v25, v26
	v_add_u32_e32 v27, 0x54, v53
	v_lshl_add_u64 v[42:43], v[24:25], 4, v[40:41]
	v_mad_u64_u32 v[24:25], s[4:5], s18, v27, 0
	v_mov_b32_e32 v26, v25
	v_mad_u64_u32 v[26:27], s[4:5], s19, v27, v[26:27]
	v_mov_b32_e32 v25, v26
	v_lshl_add_u64 v[44:45], v[24:25], 4, v[40:41]
	global_load_dwordx4 v[32:35], v[42:43], off
	global_load_dwordx4 v[24:27], v[44:45], off
	v_add_u32_e32 v45, 0x6c, v53
	v_mad_u64_u32 v[42:43], s[4:5], s18, v45, 0
	v_mov_b32_e32 v44, v43
	v_mad_u64_u32 v[44:45], s[4:5], s19, v45, v[44:45]
	v_mov_b32_e32 v43, v44
	v_add_u32_e32 v45, 0x84, v53
	v_lshl_add_u64 v[56:57], v[42:43], 4, v[40:41]
	v_mad_u64_u32 v[42:43], s[4:5], s18, v45, 0
	v_mov_b32_e32 v44, v43
	v_mad_u64_u32 v[44:45], s[4:5], s19, v45, v[44:45]
	v_mov_b32_e32 v43, v44
	v_lshl_add_u64 v[58:59], v[42:43], 4, v[40:41]
	global_load_dwordx4 v[44:47], v[56:57], off
	global_load_dwordx4 v[40:43], v[58:59], off
.LBB0_12:
	s_or_b64 exec, exec, s[0:1]
	s_mov_b32 s0, 0xcccccccd
	v_mul_hi_u32 v56, v52, s0
	v_lshrrev_b32_e32 v56, 3, v56
	v_mul_lo_u32 v56, v56, 10
	s_waitcnt vmcnt(7)
	v_add_f64 v[58:59], v[20:21], v[36:37]
	s_mov_b32 s4, 0xe8584caa
	v_sub_u32_e32 v52, v52, v56
	v_add_f64 v[56:57], v[20:21], v[0:1]
	v_fmac_f64_e32 v[0:1], -0.5, v[58:59]
	v_add_f64 v[58:59], v[22:23], -v[38:39]
	s_mov_b32 s5, 0xbfebb67a
	s_mov_b32 s11, 0x3febb67a
	;; [unrolled: 1-line block ×3, first 2 shown]
	v_fma_f64 v[60:61], s[4:5], v[58:59], v[0:1]
	v_fmac_f64_e32 v[0:1], s[10:11], v[58:59]
	v_add_f64 v[58:59], v[22:23], v[2:3]
	v_add_f64 v[22:23], v[22:23], v[38:39]
	v_fmac_f64_e32 v[2:3], -0.5, v[22:23]
	v_add_f64 v[20:21], v[20:21], -v[36:37]
	s_waitcnt vmcnt(6)
	v_add_f64 v[22:23], v[28:29], v[16:17]
	v_fma_f64 v[62:63], s[10:11], v[20:21], v[2:3]
	v_fmac_f64_e32 v[2:3], s[4:5], v[20:21]
	v_add_f64 v[20:21], v[4:5], v[16:17]
	v_fmac_f64_e32 v[4:5], -0.5, v[22:23]
	v_add_f64 v[22:23], v[18:19], -v[30:31]
	v_add_f64 v[56:57], v[36:37], v[56:57]
	v_fma_f64 v[36:37], s[4:5], v[22:23], v[4:5]
	v_fmac_f64_e32 v[4:5], s[10:11], v[22:23]
	v_add_f64 v[22:23], v[6:7], v[18:19]
	v_add_f64 v[18:19], v[30:31], v[18:19]
	v_fmac_f64_e32 v[6:7], -0.5, v[18:19]
	v_add_f64 v[16:17], v[16:17], -v[28:29]
	v_add_f64 v[20:21], v[28:29], v[20:21]
	v_fma_f64 v[28:29], s[10:11], v[16:17], v[6:7]
	v_fmac_f64_e32 v[6:7], s[4:5], v[16:17]
	v_mul_f64 v[64:65], v[6:7], s[4:5]
	v_mul_f64 v[66:67], v[36:37], s[10:11]
	v_add_f64 v[58:59], v[38:39], v[58:59]
	v_add_f64 v[22:23], v[30:31], v[22:23]
	v_mul_f64 v[30:31], v[28:29], s[4:5]
	v_fmac_f64_e32 v[64:65], -0.5, v[4:5]
	v_fmac_f64_e32 v[66:67], 0.5, v[28:29]
	v_mul_f64 v[28:29], v[6:7], -0.5
	v_fmac_f64_e32 v[30:31], 0.5, v[36:37]
	v_fmac_f64_e32 v[28:29], s[10:11], v[4:5]
	v_add_f64 v[4:5], v[0:1], v[64:65]
	v_add_f64 v[36:37], v[22:23], v[58:59]
	v_add_f64 v[58:59], v[58:59], -v[22:23]
	v_add_f64 v[22:23], v[0:1], -v[64:65]
	s_waitcnt vmcnt(3)
	v_add_f64 v[0:1], v[8:9], v[32:33]
	v_add_f64 v[16:17], v[20:21], v[56:57]
	;; [unrolled: 1-line block ×3, first 2 shown]
	v_add_f64 v[6:7], v[56:57], -v[20:21]
	v_add_f64 v[38:39], v[62:63], v[66:67]
	v_add_f64 v[56:57], v[2:3], v[28:29]
	v_add_f64 v[20:21], v[60:61], -v[30:31]
	v_add_f64 v[60:61], v[62:63], -v[66:67]
	;; [unrolled: 1-line block ×3, first 2 shown]
	s_waitcnt vmcnt(1)
	v_add_f64 v[28:29], v[44:45], v[0:1]
	v_add_f64 v[0:1], v[44:45], v[32:33]
	v_fmac_f64_e32 v[8:9], -0.5, v[0:1]
	v_add_f64 v[0:1], v[34:35], -v[46:47]
	v_fma_f64 v[30:31], s[4:5], v[0:1], v[8:9]
	v_fmac_f64_e32 v[8:9], s[10:11], v[0:1]
	v_add_f64 v[0:1], v[10:11], v[34:35]
	v_add_f64 v[64:65], v[46:47], v[0:1]
	;; [unrolled: 1-line block ×3, first 2 shown]
	v_fmac_f64_e32 v[10:11], -0.5, v[0:1]
	v_add_f64 v[0:1], v[32:33], -v[44:45]
	v_fma_f64 v[44:45], s[10:11], v[0:1], v[10:11]
	v_fmac_f64_e32 v[10:11], s[4:5], v[0:1]
	v_add_f64 v[0:1], v[24:25], v[12:13]
	s_waitcnt vmcnt(0)
	v_add_f64 v[32:33], v[40:41], v[0:1]
	v_add_f64 v[0:1], v[24:25], v[40:41]
	v_fmac_f64_e32 v[12:13], -0.5, v[0:1]
	v_add_f64 v[0:1], v[26:27], -v[42:43]
	v_fma_f64 v[34:35], s[4:5], v[0:1], v[12:13]
	v_fmac_f64_e32 v[12:13], s[10:11], v[0:1]
	v_add_f64 v[0:1], v[26:27], v[14:15]
	v_add_f64 v[46:47], v[42:43], v[0:1]
	;; [unrolled: 1-line block ×3, first 2 shown]
	v_fmac_f64_e32 v[14:15], -0.5, v[0:1]
	v_add_f64 v[0:1], v[24:25], -v[40:41]
	v_fma_f64 v[24:25], s[10:11], v[0:1], v[14:15]
	v_fmac_f64_e32 v[14:15], s[4:5], v[0:1]
	v_mul_f64 v[26:27], v[24:25], s[4:5]
	v_mul_u32_u24_e32 v52, 0x90, v52
	v_fmac_f64_e32 v[26:27], 0.5, v[34:35]
	v_mul_f64 v[66:67], v[14:15], s[4:5]
	v_mul_f64 v[68:69], v[34:35], s[10:11]
	v_add_f64 v[2:3], v[30:31], v[26:27]
	v_fmac_f64_e32 v[66:67], -0.5, v[12:13]
	v_fmac_f64_e32 v[68:69], 0.5, v[24:25]
	v_mul_f64 v[70:71], v[14:15], -0.5
	v_add_f64 v[24:25], v[30:31], -v[26:27]
	v_lshlrev_b32_e32 v30, 3, v52
	v_fmac_f64_e32 v[70:71], s[10:11], v[12:13]
	v_add_f64 v[12:13], v[8:9], v[66:67]
	v_add_f64 v[26:27], v[8:9], -v[66:67]
	v_mul_u32_u24_e32 v8, 6, v53
	v_add_u32_e32 v9, 0, v30
	v_lshl_add_u32 v31, v8, 3, v9
	s_load_dwordx2 s[2:3], s[2:3], 0x0
	ds_write_b128 v31, v[16:19]
	ds_write_b128 v31, v[4:7] offset:16
	ds_write_b128 v31, v[20:23] offset:32
	v_mul_i32_i24_e32 v4, 6, v54
	v_add_f64 v[0:1], v[28:29], v[32:33]
	v_lshl_add_u32 v16, v4, 3, v9
	s_movk_i32 s0, 0xffd8
	v_add_f64 v[14:15], v[28:29], -v[32:33]
	ds_write_b128 v16, v[0:3]
	ds_write_b128 v16, v[12:15] offset:16
	ds_write_b128 v16, v[24:27] offset:32
	v_lshl_add_u32 v26, v53, 3, v9
	v_mad_i32_i24 v28, v53, s0, v31
	v_mad_i32_i24 v29, v54, s0, v16
	v_add_f64 v[32:33], v[64:65], v[46:47]
	v_add_f64 v[34:35], v[44:45], v[68:69]
	v_add_f64 v[42:43], v[64:65], -v[46:47]
	v_add_f64 v[40:41], v[10:11], v[70:71]
	v_add_f64 v[44:45], v[44:45], -v[68:69]
	v_add_f64 v[46:47], v[10:11], -v[70:71]
	s_waitcnt lgkmcnt(0)
	s_barrier
	v_lshl_add_u32 v27, v55, 3, v9
	ds_read_b64 v[20:21], v26
	ds_read_b64 v[22:23], v27
	ds_read2_b64 v[12:15], v28 offset0:36 offset1:48
	ds_read2_b64 v[8:11], v28 offset0:60 offset1:72
	;; [unrolled: 1-line block ×4, first 2 shown]
	ds_read_b64 v[18:19], v29
	ds_read_b64 v[24:25], v28 offset:1056
	s_waitcnt lgkmcnt(0)
	s_barrier
	ds_write_b128 v31, v[36:39]
	ds_write_b128 v31, v[56:59] offset:16
	ds_write_b128 v31, v[60:63] offset:32
	ds_write_b128 v16, v[32:35]
	ds_write_b128 v16, v[40:43] offset:16
	ds_write_b128 v16, v[44:47] offset:32
	v_add_u32_e32 v16, -6, v53
	v_cmp_gt_u32_e64 s[0:1], 6, v53
	v_mov_b32_e32 v17, 0
	s_waitcnt lgkmcnt(0)
	v_cndmask_b32_e64 v31, v16, v53, s[0:1]
	v_mul_i32_i24_e32 v16, 5, v31
	v_lshl_add_u64 v[80:81], v[16:17], 4, s[8:9]
	s_barrier
	global_load_dwordx4 v[32:35], v[80:81], off offset:16
	s_movk_i32 s0, 0xab
	v_mul_lo_u16_sdwa v16, v54, s0 dst_sel:DWORD dst_unused:UNUSED_PAD src0_sel:BYTE_0 src1_sel:DWORD
	v_lshrrev_b16_e32 v16, 10, v16
	v_mul_lo_u16_e32 v36, 6, v16
	v_sub_u16_e32 v52, v54, v36
	v_mov_b32_e32 v36, 5
	v_mul_u32_u24_sdwa v36, v52, v36 dst_sel:DWORD dst_unused:UNUSED_PAD src0_sel:BYTE_0 src1_sel:DWORD
	v_lshlrev_b32_e32 v82, 4, v36
	global_load_dwordx4 v[36:39], v82, s[8:9]
	global_load_dwordx4 v[40:43], v[80:81], off offset:32
	global_load_dwordx4 v[44:47], v82, s[8:9] offset:16
	global_load_dwordx4 v[56:59], v[80:81], off offset:48
	global_load_dwordx4 v[60:63], v82, s[8:9] offset:32
	;; [unrolled: 2-line block ×3, first 2 shown]
	global_load_dwordx4 v[72:75], v[80:81], off
	global_load_dwordx4 v[76:79], v82, s[8:9] offset:64
	ds_read2_b64 v[80:83], v28 offset0:36 offset1:48
	v_cmp_lt_u32_e64 s[0:1], 5, v53
	v_lshlrev_b32_e32 v31, 3, v31
	s_waitcnt vmcnt(9) lgkmcnt(0)
	v_mul_f64 v[84:85], v[82:83], v[34:35]
	v_fmac_f64_e32 v[84:85], v[14:15], v[32:33]
	v_mul_f64 v[14:15], v[14:15], v[34:35]
	v_fma_f64 v[82:83], v[82:83], v[32:33], -v[14:15]
	ds_read2_b64 v[32:35], v28 offset0:60 offset1:72
	s_waitcnt vmcnt(8)
	v_mul_f64 v[14:15], v[80:81], v[38:39]
	v_fmac_f64_e32 v[14:15], v[12:13], v[36:37]
	v_mul_f64 v[12:13], v[12:13], v[38:39]
	v_fma_f64 v[12:13], v[80:81], v[36:37], -v[12:13]
	s_waitcnt vmcnt(7) lgkmcnt(0)
	v_mul_f64 v[80:81], v[34:35], v[42:43]
	v_fmac_f64_e32 v[80:81], v[10:11], v[40:41]
	v_mul_f64 v[10:11], v[10:11], v[42:43]
	v_fma_f64 v[40:41], v[34:35], v[40:41], -v[10:11]
	ds_read2_b64 v[34:37], v28 offset0:84 offset1:96
	s_waitcnt vmcnt(6)
	v_mul_f64 v[10:11], v[32:33], v[46:47]
	v_fmac_f64_e32 v[10:11], v[8:9], v[44:45]
	v_mul_f64 v[8:9], v[8:9], v[46:47]
	v_fma_f64 v[8:9], v[32:33], v[44:45], -v[8:9]
	;; [unrolled: 11-line block ×3, first 2 shown]
	s_waitcnt vmcnt(3) lgkmcnt(0)
	v_mul_f64 v[34:35], v[38:39], v[66:67]
	ds_read_b64 v[44:45], v27
	v_fmac_f64_e32 v[34:35], v[2:3], v[64:65]
	v_mul_f64 v[2:3], v[2:3], v[66:67]
	v_fma_f64 v[2:3], v[38:39], v[64:65], -v[2:3]
	s_waitcnt vmcnt(2)
	v_mul_f64 v[38:39], v[36:37], v[70:71]
	v_fmac_f64_e32 v[38:39], v[0:1], v[68:69]
	v_mul_f64 v[0:1], v[0:1], v[70:71]
	v_fma_f64 v[0:1], v[36:37], v[68:69], -v[0:1]
	ds_read_b64 v[36:37], v28 offset:1056
	ds_read_b64 v[46:47], v29
	ds_read_b64 v[56:57], v26
	s_waitcnt vmcnt(1) lgkmcnt(3)
	v_mul_f64 v[58:59], v[44:45], v[74:75]
	v_fmac_f64_e32 v[58:59], v[22:23], v[72:73]
	v_mul_f64 v[22:23], v[22:23], v[74:75]
	v_fma_f64 v[22:23], v[44:45], v[72:73], -v[22:23]
	s_waitcnt vmcnt(0) lgkmcnt(2)
	v_mul_f64 v[44:45], v[36:37], v[78:79]
	v_fmac_f64_e32 v[44:45], v[24:25], v[76:77]
	v_mul_f64 v[24:25], v[24:25], v[78:79]
	v_add_f64 v[60:61], v[84:85], v[32:33]
	v_fma_f64 v[24:25], v[36:37], v[76:77], -v[24:25]
	v_add_f64 v[36:37], v[20:21], v[84:85]
	v_fmac_f64_e32 v[20:21], -0.5, v[60:61]
	v_add_f64 v[62:63], v[80:81], v[34:35]
	v_add_f64 v[64:65], v[40:41], v[2:3]
	v_add_f64 v[70:71], v[82:83], -v[42:43]
	v_add_f64 v[60:61], v[58:59], v[80:81]
	v_fmac_f64_e32 v[58:59], -0.5, v[62:63]
	v_add_f64 v[62:63], v[22:23], v[40:41]
	v_fmac_f64_e32 v[22:23], -0.5, v[64:65]
	v_mov_b32_e32 v64, 0x120
	v_fma_f64 v[72:73], s[4:5], v[70:71], v[20:21]
	v_fmac_f64_e32 v[20:21], s[10:11], v[70:71]
	s_waitcnt lgkmcnt(0)
	v_add_f64 v[70:71], v[56:57], v[82:83]
	v_add_f64 v[60:61], v[60:61], v[34:35]
	v_add_f64 v[34:35], v[80:81], -v[34:35]
	v_cndmask_b32_e64 v64, 0, v64, s[0:1]
	v_add_f64 v[70:71], v[70:71], v[42:43]
	v_add_f64 v[42:43], v[82:83], v[42:43]
	v_add_u32_e32 v64, 0, v64
	v_add_f64 v[36:37], v[36:37], v[32:33]
	v_add_f64 v[40:41], v[40:41], -v[2:3]
	v_fma_f64 v[66:67], s[10:11], v[34:35], v[22:23]
	v_fmac_f64_e32 v[56:57], -0.5, v[42:43]
	v_add_f64 v[32:33], v[84:85], -v[32:33]
	v_fmac_f64_e32 v[22:23], s[4:5], v[34:35]
	v_add3_u32 v31, v64, v31, v30
	v_fma_f64 v[64:65], s[4:5], v[40:41], v[58:59]
	v_fma_f64 v[42:43], s[10:11], v[32:33], v[56:57]
	v_fmac_f64_e32 v[56:57], s[4:5], v[32:33]
	v_fmac_f64_e32 v[58:59], s[10:11], v[40:41]
	v_mul_f64 v[32:33], v[66:67], 0.5
	v_mul_f64 v[34:35], v[22:23], s[4:5]
	v_mul_f64 v[22:23], v[22:23], -0.5
	v_fmac_f64_e32 v[32:33], s[10:11], v[64:65]
	v_fmac_f64_e32 v[22:23], s[10:11], v[58:59]
	v_add_f64 v[2:3], v[62:63], v[2:3]
	v_fmac_f64_e32 v[34:35], -0.5, v[58:59]
	v_add_f64 v[62:63], v[42:43], v[32:33]
	v_add_f64 v[32:33], v[42:43], -v[32:33]
	v_add_f64 v[42:43], v[56:57], v[22:23]
	v_add_f64 v[56:57], v[56:57], -v[22:23]
	v_add_f64 v[22:23], v[10:11], v[38:39]
	v_mul_f64 v[68:69], v[66:67], s[4:5]
	v_add_f64 v[74:75], v[36:37], v[60:61]
	v_add_f64 v[36:37], v[36:37], -v[60:61]
	v_add_f64 v[58:59], v[20:21], v[34:35]
	v_add_f64 v[20:21], v[20:21], -v[34:35]
	;; [unrolled: 2-line block ×3, first 2 shown]
	v_add_f64 v[2:3], v[18:19], v[10:11]
	v_fmac_f64_e32 v[18:19], -0.5, v[22:23]
	v_add_f64 v[22:23], v[8:9], -v[0:1]
	v_fmac_f64_e32 v[68:69], 0.5, v[64:65]
	v_fma_f64 v[64:65], s[4:5], v[22:23], v[18:19]
	v_fmac_f64_e32 v[18:19], s[10:11], v[22:23]
	v_add_f64 v[22:23], v[46:47], v[8:9]
	v_add_f64 v[22:23], v[22:23], v[0:1]
	;; [unrolled: 1-line block ×3, first 2 shown]
	v_fmac_f64_e32 v[46:47], -0.5, v[0:1]
	v_add_f64 v[0:1], v[2:3], v[38:39]
	v_add_f64 v[2:3], v[10:11], -v[38:39]
	v_add_f64 v[10:11], v[6:7], v[44:45]
	v_fma_f64 v[8:9], s[10:11], v[2:3], v[46:47]
	v_fmac_f64_e32 v[46:47], s[4:5], v[2:3]
	v_add_f64 v[2:3], v[14:15], v[6:7]
	v_fmac_f64_e32 v[14:15], -0.5, v[10:11]
	v_add_f64 v[10:11], v[4:5], -v[24:25]
	v_fma_f64 v[38:39], s[4:5], v[10:11], v[14:15]
	v_fmac_f64_e32 v[14:15], s[10:11], v[10:11]
	v_add_f64 v[10:11], v[12:13], v[4:5]
	v_add_f64 v[4:5], v[4:5], v[24:25]
	v_fmac_f64_e32 v[12:13], -0.5, v[4:5]
	v_add_f64 v[4:5], v[6:7], -v[44:45]
	v_fma_f64 v[6:7], s[10:11], v[4:5], v[12:13]
	v_fmac_f64_e32 v[12:13], s[4:5], v[4:5]
	v_mul_f64 v[4:5], v[6:7], s[4:5]
	v_mul_f64 v[6:7], v[6:7], 0.5
	v_fmac_f64_e32 v[6:7], s[10:11], v[38:39]
	v_add_f64 v[76:77], v[72:73], v[68:69]
	v_add_f64 v[40:41], v[72:73], -v[68:69]
	v_add_f64 v[10:11], v[10:11], v[24:25]
	v_mul_f64 v[24:25], v[12:13], s[4:5]
	v_add_f64 v[66:67], v[8:9], v[6:7]
	v_add_f64 v[68:69], v[8:9], -v[6:7]
	s_movk_i32 s1, 0x120
	v_mov_b32_e32 v7, 3
	v_add_f64 v[2:3], v[2:3], v[44:45]
	v_fmac_f64_e32 v[4:5], 0.5, v[38:39]
	v_fmac_f64_e32 v[24:25], -0.5, v[14:15]
	v_mul_f64 v[12:13], v[12:13], -0.5
	v_mad_u32_u24 v6, v16, s1, 0
	v_lshlrev_b32_sdwa v7, v7, v52 dst_sel:DWORD dst_unused:UNUSED_PAD src0_sel:DWORD src1_sel:BYTE_0
	v_fmac_f64_e32 v[12:13], s[10:11], v[14:15]
	v_add_f64 v[14:15], v[0:1], v[2:3]
	v_add_f64 v[0:1], v[0:1], -v[2:3]
	v_add_f64 v[2:3], v[64:65], v[4:5]
	v_add_f64 v[4:5], v[64:65], -v[4:5]
	;; [unrolled: 2-line block ×3, first 2 shown]
	v_add3_u32 v16, v6, v7, v30
	s_barrier
	ds_write2_b64 v31, v[74:75], v[76:77] offset1:6
	v_add_f64 v[44:45], v[22:23], v[10:11]
	v_add_f64 v[64:65], v[22:23], -v[10:11]
	v_add_f64 v[70:71], v[46:47], v[12:13]
	v_add_f64 v[46:47], v[46:47], -v[12:13]
	ds_write2_b64 v31, v[58:59], v[36:37] offset0:12 offset1:18
	ds_write2_b64 v31, v[40:41], v[20:21] offset0:24 offset1:30
	ds_write2_b64 v16, v[14:15], v[2:3] offset1:6
	ds_write2_b64 v16, v[38:39], v[0:1] offset0:12 offset1:18
	ds_write2_b64 v16, v[4:5], v[18:19] offset0:24 offset1:30
	s_waitcnt lgkmcnt(0)
	s_barrier
	ds_read2_b64 v[0:3], v28 offset0:36 offset1:48
	ds_read2_b64 v[8:11], v28 offset0:60 offset1:72
	;; [unrolled: 1-line block ×4, first 2 shown]
	ds_read_b64 v[18:19], v26
	ds_read_b64 v[22:23], v27
	;; [unrolled: 1-line block ×3, first 2 shown]
	ds_read_b64 v[24:25], v28 offset:1056
	s_movk_i32 s0, 0x90
	s_waitcnt lgkmcnt(0)
	s_barrier
	ds_write2_b64 v31, v[34:35], v[62:63] offset1:6
	ds_write2_b64 v31, v[42:43], v[60:61] offset0:12 offset1:18
	ds_write2_b64 v31, v[32:33], v[56:57] offset0:24 offset1:30
	ds_write2_b64 v16, v[44:45], v[66:67] offset1:6
	ds_write2_b64 v16, v[70:71], v[64:65] offset0:12 offset1:18
	ds_write2_b64 v16, v[68:69], v[46:47] offset0:24 offset1:30
	s_waitcnt lgkmcnt(0)
	s_barrier
	s_and_saveexec_b64 s[4:5], vcc
	s_cbranch_execz .LBB0_14
; %bb.13:
	v_mul_i32_i24_e32 v16, 3, v55
	v_lshl_add_u64 v[42:43], v[16:17], 4, s[8:9]
	global_load_dwordx4 v[30:33], v[42:43], off offset:512
	global_load_dwordx4 v[34:37], v[42:43], off offset:496
	;; [unrolled: 1-line block ×3, first 2 shown]
	v_mul_u32_u24_e32 v16, 3, v53
	v_lshlrev_b32_e32 v46, 4, v16
	global_load_dwordx4 v[42:45], v46, s[8:9] offset:496
	v_mul_i32_i24_e32 v16, 3, v54
	v_lshl_add_u64 v[16:17], v[16:17], 4, s[8:9]
	global_load_dwordx4 v[54:57], v46, s[8:9] offset:480
	global_load_dwordx4 v[58:61], v[16:17], off offset:496
	global_load_dwordx4 v[62:65], v[16:17], off offset:480
	;; [unrolled: 1-line block ×3, first 2 shown]
	global_load_dwordx4 v[70:73], v46, s[8:9] offset:512
	v_mul_lo_u32 v52, s3, v50
	v_mul_lo_u32 v92, s2, v51
	v_mad_u64_u32 v[16:17], s[2:3], s2, v50, 0
	ds_read2_b64 v[74:77], v28 offset0:84 offset1:96
	ds_read2_b64 v[78:81], v28 offset0:60 offset1:72
	ds_read_b64 v[46:47], v29
	ds_read2_b64 v[82:85], v28 offset0:36 offset1:48
	ds_read2_b64 v[86:89], v28 offset0:108 offset1:120
	ds_read_b64 v[28:29], v28 offset:1056
	ds_read_b64 v[50:51], v27
	ds_read_b64 v[90:91], v26
	s_mov_b32 s1, 0x38e38e39
	v_add3_u32 v17, v17, v92, v52
	s_waitcnt vmcnt(8)
	v_mul_f64 v[26:27], v[24:25], v[30:31]
	v_mul_f64 v[24:25], v[24:25], v[32:33]
	s_waitcnt lgkmcnt(2)
	v_fmac_f64_e32 v[26:27], v[28:29], v[32:33]
	v_fma_f64 v[24:25], v[28:29], v[30:31], -v[24:25]
	s_waitcnt vmcnt(7)
	v_mul_f64 v[28:29], v[14:15], v[36:37]
	s_waitcnt vmcnt(6)
	v_mul_f64 v[30:31], v[8:9], v[38:39]
	v_mul_f64 v[32:33], v[76:77], v[36:37]
	;; [unrolled: 1-line block ×3, first 2 shown]
	v_fma_f64 v[28:29], v[76:77], v[34:35], -v[28:29]
	v_fmac_f64_e32 v[32:33], v[14:15], v[34:35]
	v_fma_f64 v[34:35], v[78:79], v[38:39], -v[8:9]
	s_waitcnt vmcnt(3)
	v_mul_f64 v[38:39], v[74:75], v[60:61]
	v_mul_f64 v[14:15], v[10:11], v[44:45]
	v_fmac_f64_e32 v[30:31], v[78:79], v[40:41]
	v_mul_f64 v[8:9], v[12:13], v[60:61]
	s_waitcnt vmcnt(2)
	v_mul_f64 v[40:41], v[2:3], v[62:63]
	v_fmac_f64_e32 v[38:39], v[12:13], v[58:59]
	s_waitcnt vmcnt(1)
	v_mul_f64 v[12:13], v[6:7], v[66:67]
	v_mul_f64 v[2:3], v[2:3], v[64:65]
	;; [unrolled: 1-line block ×3, first 2 shown]
	v_fma_f64 v[36:37], v[74:75], v[58:59], -v[8:9]
	v_fma_f64 v[8:9], v[80:81], v[42:43], -v[14:15]
	s_waitcnt lgkmcnt(1)
	v_add_f64 v[14:15], v[50:51], -v[28:29]
	v_add_f64 v[26:27], v[30:31], -v[26:27]
	;; [unrolled: 1-line block ×4, first 2 shown]
	v_fmac_f64_e32 v[40:41], v[84:85], v[64:65]
	v_fmac_f64_e32 v[12:13], v[88:89], v[68:69]
	v_fma_f64 v[2:3], v[84:85], v[62:63], -v[2:3]
	v_fma_f64 v[32:33], v[88:89], v[66:67], -v[6:7]
	v_add_f64 v[6:7], v[28:29], v[24:25]
	v_fma_f64 v[24:25], v[34:35], 2.0, -v[24:25]
	v_fma_f64 v[34:35], v[22:23], 2.0, -v[28:29]
	v_fma_f64 v[22:23], v[30:31], 2.0, -v[26:27]
	v_add_f64 v[30:31], v[40:41], -v[12:13]
	v_add_f64 v[38:39], v[20:21], -v[38:39]
	;; [unrolled: 1-line block ×3, first 2 shown]
	s_waitcnt lgkmcnt(0)
	v_add_f64 v[62:63], v[90:91], -v[8:9]
	v_add_f64 v[8:9], v[14:15], -v[26:27]
	;; [unrolled: 1-line block ×4, first 2 shown]
	v_add_f64 v[26:27], v[38:39], v[32:33]
	v_fma_f64 v[20:21], v[20:21], 2.0, -v[38:39]
	v_fma_f64 v[58:59], v[40:41], 2.0, -v[30:31]
	;; [unrolled: 1-line block ×3, first 2 shown]
	v_add_f64 v[28:29], v[36:37], -v[30:31]
	v_fma_f64 v[30:31], v[34:35], 2.0, -v[22:23]
	v_fma_f64 v[34:35], v[38:39], 2.0, -v[26:27]
	v_add_f64 v[38:39], v[20:21], -v[58:59]
	v_fma_f64 v[58:59], v[20:21], 2.0, -v[38:39]
	v_mul_f64 v[20:21], v[80:81], v[44:45]
	v_mul_f64 v[76:77], v[0:1], v[54:55]
	v_fmac_f64_e32 v[20:21], v[10:11], v[42:43]
	v_mul_f64 v[0:1], v[0:1], v[56:57]
	v_fma_f64 v[46:47], v[46:47], 2.0, -v[36:37]
	v_fma_f64 v[2:3], v[2:3], 2.0, -v[32:33]
	v_add_f64 v[10:11], v[18:19], -v[20:21]
	v_fma_f64 v[20:21], v[82:83], v[54:55], -v[0:1]
	s_waitcnt vmcnt(0)
	v_mul_f64 v[0:1], v[4:5], v[72:73]
	v_fma_f64 v[50:51], v[50:51], 2.0, -v[14:15]
	v_add_f64 v[40:41], v[46:47], -v[2:3]
	v_mul_f64 v[2:3], v[4:5], v[70:71]
	v_fma_f64 v[0:1], v[86:87], v[70:71], -v[0:1]
	v_fmac_f64_e32 v[76:77], v[82:83], v[56:57]
	v_add_f64 v[24:25], v[50:51], -v[24:25]
	v_fmac_f64_e32 v[2:3], v[86:87], v[72:73]
	v_add_f64 v[4:5], v[20:21], -v[0:1]
	v_fma_f64 v[32:33], v[50:51], 2.0, -v[24:25]
	v_add_f64 v[50:51], v[76:77], -v[2:3]
	v_add_f64 v[0:1], v[10:11], v[4:5]
	v_fma_f64 v[42:43], v[90:91], 2.0, -v[62:63]
	v_fma_f64 v[4:5], v[20:21], 2.0, -v[4:5]
	;; [unrolled: 1-line block ×3, first 2 shown]
	v_add_f64 v[20:21], v[42:43], -v[4:5]
	v_fma_f64 v[4:5], v[18:19], 2.0, -v[10:11]
	v_fma_f64 v[10:11], v[76:77], 2.0, -v[50:51]
	v_add_f64 v[18:19], v[4:5], -v[10:11]
	v_fma_f64 v[54:55], v[4:5], 2.0, -v[18:19]
	v_mul_hi_u32 v4, v53, s1
	v_lshrrev_b32_e32 v4, 3, v4
	v_mul_lo_u32 v4, v4, 36
	v_fma_f64 v[56:57], v[42:43], 2.0, -v[20:21]
	v_sub_u32_e32 v42, v53, v4
	v_mad_u64_u32 v[4:5], s[2:3], s16, v42, 0
	v_mov_b32_e32 v10, v5
	v_mad_u64_u32 v[10:11], s[2:3], s17, v42, v[10:11]
	v_mov_b32_e32 v5, v10
	v_lshl_add_u64 v[10:11], v[16:17], 4, s[6:7]
	v_lshl_add_u64 v[10:11], v[48:49], 4, v[10:11]
	;; [unrolled: 1-line block ×3, first 2 shown]
	v_add_u32_e32 v17, 36, v42
	global_store_dwordx4 v[4:5], v[54:57], off
	v_mad_u64_u32 v[4:5], s[2:3], s16, v17, 0
	v_mov_b32_e32 v16, v5
	v_mad_u64_u32 v[16:17], s[2:3], s17, v17, v[16:17]
	v_add_f64 v[2:3], v[62:63], -v[50:51]
	v_mov_b32_e32 v5, v16
	v_fma_f64 v[60:61], v[46:47], 2.0, -v[40:41]
	v_fma_f64 v[46:47], v[62:63], 2.0, -v[2:3]
	v_lshl_add_u64 v[4:5], v[4:5], 4, v[10:11]
	v_add_u32_e32 v17, 0x48, v42
	global_store_dwordx4 v[4:5], v[44:47], off
	v_mad_u64_u32 v[4:5], s[2:3], s16, v17, 0
	v_mov_b32_e32 v16, v5
	v_mad_u64_u32 v[16:17], s[2:3], s17, v17, v[16:17]
	v_mov_b32_e32 v5, v16
	v_lshl_add_u64 v[4:5], v[4:5], 4, v[10:11]
	v_add_u32_e32 v17, 0x6c, v42
	global_store_dwordx4 v[4:5], v[18:21], off
	v_mad_u64_u32 v[4:5], s[2:3], s16, v17, 0
	v_mov_b32_e32 v16, v5
	v_mad_u64_u32 v[16:17], s[2:3], s17, v17, v[16:17]
	v_mov_b32_e32 v5, v16
	v_lshl_add_u64 v[4:5], v[4:5], 4, v[10:11]
	global_store_dwordx4 v[4:5], v[0:3], off
	v_fma_f64 v[36:37], v[36:37], 2.0, -v[28:29]
	v_fma_f64 v[14:15], v[14:15], 2.0, -v[8:9]
	v_add_u32_e32 v0, 12, v53
	v_mul_hi_u32 v1, v0, s1
	v_lshrrev_b32_e32 v1, 3, v1
	v_mul_lo_u32 v2, v1, 36
	v_sub_u32_e32 v0, v0, v2
	v_mad_u64_u32 v[0:1], s[2:3], v1, s0, v[0:1]
	v_mad_u64_u32 v[2:3], s[2:3], s16, v0, 0
	v_mov_b32_e32 v4, v3
	v_mad_u64_u32 v[4:5], s[2:3], s17, v0, v[4:5]
	v_mov_b32_e32 v3, v4
	v_lshl_add_u64 v[2:3], v[2:3], 4, v[10:11]
	v_add_u32_e32 v1, 36, v0
	global_store_dwordx4 v[2:3], v[58:61], off
	v_mad_u64_u32 v[2:3], s[2:3], s16, v1, 0
	v_mov_b32_e32 v4, v3
	v_mad_u64_u32 v[4:5], s[2:3], s17, v1, v[4:5]
	v_mov_b32_e32 v3, v4
	v_lshl_add_u64 v[2:3], v[2:3], 4, v[10:11]
	v_add_u32_e32 v1, 0x48, v0
	global_store_dwordx4 v[2:3], v[34:37], off
	v_mad_u64_u32 v[2:3], s[2:3], s16, v1, 0
	v_mov_b32_e32 v4, v3
	v_mad_u64_u32 v[4:5], s[2:3], s17, v1, v[4:5]
	v_mov_b32_e32 v3, v4
	v_lshl_add_u64 v[2:3], v[2:3], 4, v[10:11]
	global_store_dwordx4 v[2:3], v[38:41], off
	v_add_u32_e32 v3, 0x6c, v0
	v_mad_u64_u32 v[0:1], s[2:3], s16, v3, 0
	v_mov_b32_e32 v2, v1
	v_mad_u64_u32 v[2:3], s[2:3], s17, v3, v[2:3]
	v_mov_b32_e32 v1, v2
	v_lshl_add_u64 v[0:1], v[0:1], 4, v[10:11]
	global_store_dwordx4 v[0:1], v[26:29], off
	v_add_u32_e32 v0, 24, v53
	v_mul_hi_u32 v1, v0, s1
	v_lshrrev_b32_e32 v1, 3, v1
	v_mul_lo_u32 v2, v1, 36
	v_sub_u32_e32 v0, v0, v2
	v_mad_u64_u32 v[0:1], s[0:1], v1, s0, v[0:1]
	v_mad_u64_u32 v[2:3], s[0:1], s16, v0, 0
	v_mov_b32_e32 v4, v3
	v_mad_u64_u32 v[4:5], s[0:1], s17, v0, v[4:5]
	v_mov_b32_e32 v3, v4
	v_lshl_add_u64 v[2:3], v[2:3], 4, v[10:11]
	v_add_u32_e32 v1, 36, v0
	global_store_dwordx4 v[2:3], v[30:33], off
	v_mad_u64_u32 v[2:3], s[0:1], s16, v1, 0
	v_mov_b32_e32 v4, v3
	v_mad_u64_u32 v[4:5], s[0:1], s17, v1, v[4:5]
	v_mov_b32_e32 v3, v4
	v_lshl_add_u64 v[2:3], v[2:3], 4, v[10:11]
	v_add_u32_e32 v1, 0x48, v0
	global_store_dwordx4 v[2:3], v[12:15], off
	v_mad_u64_u32 v[2:3], s[0:1], s16, v1, 0
	v_mov_b32_e32 v4, v3
	v_mad_u64_u32 v[4:5], s[0:1], s17, v1, v[4:5]
	v_mov_b32_e32 v3, v4
	v_lshl_add_u64 v[2:3], v[2:3], 4, v[10:11]
	global_store_dwordx4 v[2:3], v[22:25], off
	v_add_u32_e32 v3, 0x6c, v0
	v_mad_u64_u32 v[0:1], s[0:1], s16, v3, 0
	v_mov_b32_e32 v2, v1
	v_mad_u64_u32 v[2:3], s[0:1], s17, v3, v[2:3]
	v_mov_b32_e32 v1, v2
	v_lshl_add_u64 v[0:1], v[0:1], 4, v[10:11]
	global_store_dwordx4 v[0:1], v[6:9], off
.LBB0_14:
	s_endpgm
	.section	.rodata,"a",@progbits
	.p2align	6, 0x0
	.amdhsa_kernel fft_rtc_back_len144_factors_6_6_4_wgs_120_tpt_12_halfLds_dp_op_CI_CI_sbrr_dirReg
		.amdhsa_group_segment_fixed_size 0
		.amdhsa_private_segment_fixed_size 0
		.amdhsa_kernarg_size 104
		.amdhsa_user_sgpr_count 2
		.amdhsa_user_sgpr_dispatch_ptr 0
		.amdhsa_user_sgpr_queue_ptr 0
		.amdhsa_user_sgpr_kernarg_segment_ptr 1
		.amdhsa_user_sgpr_dispatch_id 0
		.amdhsa_user_sgpr_kernarg_preload_length 0
		.amdhsa_user_sgpr_kernarg_preload_offset 0
		.amdhsa_user_sgpr_private_segment_size 0
		.amdhsa_uses_dynamic_stack 0
		.amdhsa_enable_private_segment 0
		.amdhsa_system_sgpr_workgroup_id_x 1
		.amdhsa_system_sgpr_workgroup_id_y 0
		.amdhsa_system_sgpr_workgroup_id_z 0
		.amdhsa_system_sgpr_workgroup_info 0
		.amdhsa_system_vgpr_workitem_id 0
		.amdhsa_next_free_vgpr 93
		.amdhsa_next_free_sgpr 32
		.amdhsa_accum_offset 96
		.amdhsa_reserve_vcc 1
		.amdhsa_float_round_mode_32 0
		.amdhsa_float_round_mode_16_64 0
		.amdhsa_float_denorm_mode_32 3
		.amdhsa_float_denorm_mode_16_64 3
		.amdhsa_dx10_clamp 1
		.amdhsa_ieee_mode 1
		.amdhsa_fp16_overflow 0
		.amdhsa_tg_split 0
		.amdhsa_exception_fp_ieee_invalid_op 0
		.amdhsa_exception_fp_denorm_src 0
		.amdhsa_exception_fp_ieee_div_zero 0
		.amdhsa_exception_fp_ieee_overflow 0
		.amdhsa_exception_fp_ieee_underflow 0
		.amdhsa_exception_fp_ieee_inexact 0
		.amdhsa_exception_int_div_zero 0
	.end_amdhsa_kernel
	.text
.Lfunc_end0:
	.size	fft_rtc_back_len144_factors_6_6_4_wgs_120_tpt_12_halfLds_dp_op_CI_CI_sbrr_dirReg, .Lfunc_end0-fft_rtc_back_len144_factors_6_6_4_wgs_120_tpt_12_halfLds_dp_op_CI_CI_sbrr_dirReg
                                        ; -- End function
	.section	.AMDGPU.csdata,"",@progbits
; Kernel info:
; codeLenInByte = 5956
; NumSgprs: 38
; NumVgprs: 93
; NumAgprs: 0
; TotalNumVgprs: 93
; ScratchSize: 0
; MemoryBound: 1
; FloatMode: 240
; IeeeMode: 1
; LDSByteSize: 0 bytes/workgroup (compile time only)
; SGPRBlocks: 4
; VGPRBlocks: 11
; NumSGPRsForWavesPerEU: 38
; NumVGPRsForWavesPerEU: 93
; AccumOffset: 96
; Occupancy: 5
; WaveLimiterHint : 1
; COMPUTE_PGM_RSRC2:SCRATCH_EN: 0
; COMPUTE_PGM_RSRC2:USER_SGPR: 2
; COMPUTE_PGM_RSRC2:TRAP_HANDLER: 0
; COMPUTE_PGM_RSRC2:TGID_X_EN: 1
; COMPUTE_PGM_RSRC2:TGID_Y_EN: 0
; COMPUTE_PGM_RSRC2:TGID_Z_EN: 0
; COMPUTE_PGM_RSRC2:TIDIG_COMP_CNT: 0
; COMPUTE_PGM_RSRC3_GFX90A:ACCUM_OFFSET: 23
; COMPUTE_PGM_RSRC3_GFX90A:TG_SPLIT: 0
	.text
	.p2alignl 6, 3212836864
	.fill 256, 4, 3212836864
	.type	__hip_cuid_6614d074908baf98,@object ; @__hip_cuid_6614d074908baf98
	.section	.bss,"aw",@nobits
	.globl	__hip_cuid_6614d074908baf98
__hip_cuid_6614d074908baf98:
	.byte	0                               ; 0x0
	.size	__hip_cuid_6614d074908baf98, 1

	.ident	"AMD clang version 19.0.0git (https://github.com/RadeonOpenCompute/llvm-project roc-6.4.0 25133 c7fe45cf4b819c5991fe208aaa96edf142730f1d)"
	.section	".note.GNU-stack","",@progbits
	.addrsig
	.addrsig_sym __hip_cuid_6614d074908baf98
	.amdgpu_metadata
---
amdhsa.kernels:
  - .agpr_count:     0
    .args:
      - .actual_access:  read_only
        .address_space:  global
        .offset:         0
        .size:           8
        .value_kind:     global_buffer
      - .offset:         8
        .size:           8
        .value_kind:     by_value
      - .actual_access:  read_only
        .address_space:  global
        .offset:         16
        .size:           8
        .value_kind:     global_buffer
      - .actual_access:  read_only
        .address_space:  global
        .offset:         24
        .size:           8
        .value_kind:     global_buffer
      - .actual_access:  read_only
        .address_space:  global
        .offset:         32
        .size:           8
        .value_kind:     global_buffer
      - .offset:         40
        .size:           8
        .value_kind:     by_value
      - .actual_access:  read_only
        .address_space:  global
        .offset:         48
        .size:           8
        .value_kind:     global_buffer
      - .actual_access:  read_only
        .address_space:  global
        .offset:         56
        .size:           8
        .value_kind:     global_buffer
      - .offset:         64
        .size:           4
        .value_kind:     by_value
      - .actual_access:  read_only
        .address_space:  global
        .offset:         72
        .size:           8
        .value_kind:     global_buffer
      - .actual_access:  read_only
        .address_space:  global
        .offset:         80
        .size:           8
        .value_kind:     global_buffer
      - .actual_access:  read_only
        .address_space:  global
        .offset:         88
        .size:           8
        .value_kind:     global_buffer
      - .actual_access:  write_only
        .address_space:  global
        .offset:         96
        .size:           8
        .value_kind:     global_buffer
    .group_segment_fixed_size: 0
    .kernarg_segment_align: 8
    .kernarg_segment_size: 104
    .language:       OpenCL C
    .language_version:
      - 2
      - 0
    .max_flat_workgroup_size: 120
    .name:           fft_rtc_back_len144_factors_6_6_4_wgs_120_tpt_12_halfLds_dp_op_CI_CI_sbrr_dirReg
    .private_segment_fixed_size: 0
    .sgpr_count:     38
    .sgpr_spill_count: 0
    .symbol:         fft_rtc_back_len144_factors_6_6_4_wgs_120_tpt_12_halfLds_dp_op_CI_CI_sbrr_dirReg.kd
    .uniform_work_group_size: 1
    .uses_dynamic_stack: false
    .vgpr_count:     93
    .vgpr_spill_count: 0
    .wavefront_size: 64
amdhsa.target:   amdgcn-amd-amdhsa--gfx950
amdhsa.version:
  - 1
  - 2
...

	.end_amdgpu_metadata
